;; amdgpu-corpus repo=ROCm/rocFFT kind=compiled arch=gfx906 opt=O3
	.text
	.amdgcn_target "amdgcn-amd-amdhsa--gfx906"
	.amdhsa_code_object_version 6
	.protected	fft_rtc_fwd_len147_factors_7_7_3_wgs_63_tpt_21_dp_op_CI_CI_unitstride_sbrr_dirReg ; -- Begin function fft_rtc_fwd_len147_factors_7_7_3_wgs_63_tpt_21_dp_op_CI_CI_unitstride_sbrr_dirReg
	.globl	fft_rtc_fwd_len147_factors_7_7_3_wgs_63_tpt_21_dp_op_CI_CI_unitstride_sbrr_dirReg
	.p2align	8
	.type	fft_rtc_fwd_len147_factors_7_7_3_wgs_63_tpt_21_dp_op_CI_CI_unitstride_sbrr_dirReg,@function
fft_rtc_fwd_len147_factors_7_7_3_wgs_63_tpt_21_dp_op_CI_CI_unitstride_sbrr_dirReg: ; @fft_rtc_fwd_len147_factors_7_7_3_wgs_63_tpt_21_dp_op_CI_CI_unitstride_sbrr_dirReg
; %bb.0:
	s_load_dwordx4 s[8:11], s[4:5], 0x58
	s_load_dwordx4 s[12:15], s[4:5], 0x0
	;; [unrolled: 1-line block ×3, first 2 shown]
	v_mul_u32_u24_e32 v1, 0xc31, v0
	v_lshrrev_b32_e32 v1, 16, v1
	v_mad_u64_u32 v[3:4], s[0:1], s6, 3, v[1:2]
	v_mov_b32_e32 v5, 0
	v_mov_b32_e32 v1, 0
	;; [unrolled: 1-line block ×3, first 2 shown]
	s_waitcnt lgkmcnt(0)
	v_cmp_lt_u64_e64 s[0:1], s[14:15], 2
	v_mov_b32_e32 v2, 0
	v_mov_b32_e32 v37, v2
	;; [unrolled: 1-line block ×3, first 2 shown]
	s_and_b64 vcc, exec, s[0:1]
	v_mov_b32_e32 v36, v1
	v_mov_b32_e32 v38, v3
	s_cbranch_vccnz .LBB0_8
; %bb.1:
	s_load_dwordx2 s[0:1], s[4:5], 0x10
	s_add_u32 s2, s18, 8
	s_addc_u32 s3, s19, 0
	s_add_u32 s6, s16, 8
	v_mov_b32_e32 v1, 0
	s_addc_u32 s7, s17, 0
	v_mov_b32_e32 v2, 0
	s_waitcnt lgkmcnt(0)
	s_add_u32 s20, s0, 8
	v_mov_b32_e32 v37, v2
	v_mov_b32_e32 v8, v4
	s_addc_u32 s21, s1, 0
	s_mov_b64 s[22:23], 1
	v_mov_b32_e32 v36, v1
	v_mov_b32_e32 v7, v3
.LBB0_2:                                ; =>This Inner Loop Header: Depth=1
	s_load_dwordx2 s[24:25], s[20:21], 0x0
                                        ; implicit-def: $vgpr38_vgpr39
	s_waitcnt lgkmcnt(0)
	v_or_b32_e32 v6, s25, v8
	v_cmp_ne_u64_e32 vcc, 0, v[5:6]
	s_and_saveexec_b64 s[0:1], vcc
	s_xor_b64 s[26:27], exec, s[0:1]
	s_cbranch_execz .LBB0_4
; %bb.3:                                ;   in Loop: Header=BB0_2 Depth=1
	v_cvt_f32_u32_e32 v4, s24
	v_cvt_f32_u32_e32 v6, s25
	s_sub_u32 s0, 0, s24
	s_subb_u32 s1, 0, s25
	v_mac_f32_e32 v4, 0x4f800000, v6
	v_rcp_f32_e32 v4, v4
	v_mul_f32_e32 v4, 0x5f7ffffc, v4
	v_mul_f32_e32 v6, 0x2f800000, v4
	v_trunc_f32_e32 v6, v6
	v_mac_f32_e32 v4, 0xcf800000, v6
	v_cvt_u32_f32_e32 v6, v6
	v_cvt_u32_f32_e32 v4, v4
	v_mul_lo_u32 v9, s0, v6
	v_mul_hi_u32 v10, s0, v4
	v_mul_lo_u32 v12, s1, v4
	v_mul_lo_u32 v11, s0, v4
	v_add_u32_e32 v9, v10, v9
	v_add_u32_e32 v9, v9, v12
	v_mul_hi_u32 v10, v4, v11
	v_mul_lo_u32 v12, v4, v9
	v_mul_hi_u32 v14, v4, v9
	v_mul_hi_u32 v13, v6, v11
	v_mul_lo_u32 v11, v6, v11
	v_mul_hi_u32 v15, v6, v9
	v_add_co_u32_e32 v10, vcc, v10, v12
	v_addc_co_u32_e32 v12, vcc, 0, v14, vcc
	v_mul_lo_u32 v9, v6, v9
	v_add_co_u32_e32 v10, vcc, v10, v11
	v_addc_co_u32_e32 v10, vcc, v12, v13, vcc
	v_addc_co_u32_e32 v11, vcc, 0, v15, vcc
	v_add_co_u32_e32 v9, vcc, v10, v9
	v_addc_co_u32_e32 v10, vcc, 0, v11, vcc
	v_add_co_u32_e32 v4, vcc, v4, v9
	v_addc_co_u32_e32 v6, vcc, v6, v10, vcc
	v_mul_lo_u32 v9, s0, v6
	v_mul_hi_u32 v10, s0, v4
	v_mul_lo_u32 v11, s1, v4
	v_mul_lo_u32 v12, s0, v4
	v_add_u32_e32 v9, v10, v9
	v_add_u32_e32 v9, v9, v11
	v_mul_lo_u32 v13, v4, v9
	v_mul_hi_u32 v14, v4, v12
	v_mul_hi_u32 v15, v4, v9
	;; [unrolled: 1-line block ×3, first 2 shown]
	v_mul_lo_u32 v12, v6, v12
	v_mul_hi_u32 v10, v6, v9
	v_add_co_u32_e32 v13, vcc, v14, v13
	v_addc_co_u32_e32 v14, vcc, 0, v15, vcc
	v_mul_lo_u32 v9, v6, v9
	v_add_co_u32_e32 v12, vcc, v13, v12
	v_addc_co_u32_e32 v11, vcc, v14, v11, vcc
	v_addc_co_u32_e32 v10, vcc, 0, v10, vcc
	v_add_co_u32_e32 v9, vcc, v11, v9
	v_addc_co_u32_e32 v10, vcc, 0, v10, vcc
	v_add_co_u32_e32 v4, vcc, v4, v9
	v_addc_co_u32_e32 v6, vcc, v6, v10, vcc
	v_mad_u64_u32 v[9:10], s[0:1], v7, v6, 0
	v_mul_hi_u32 v11, v7, v4
	v_add_co_u32_e32 v13, vcc, v11, v9
	v_addc_co_u32_e32 v14, vcc, 0, v10, vcc
	v_mad_u64_u32 v[9:10], s[0:1], v8, v4, 0
	v_mad_u64_u32 v[11:12], s[0:1], v8, v6, 0
	v_add_co_u32_e32 v4, vcc, v13, v9
	v_addc_co_u32_e32 v4, vcc, v14, v10, vcc
	v_addc_co_u32_e32 v6, vcc, 0, v12, vcc
	v_add_co_u32_e32 v4, vcc, v4, v11
	v_addc_co_u32_e32 v6, vcc, 0, v6, vcc
	v_mul_lo_u32 v11, s25, v4
	v_mul_lo_u32 v12, s24, v6
	v_mad_u64_u32 v[9:10], s[0:1], s24, v4, 0
	v_add3_u32 v10, v10, v12, v11
	v_sub_u32_e32 v11, v8, v10
	v_mov_b32_e32 v12, s25
	v_sub_co_u32_e32 v9, vcc, v7, v9
	v_subb_co_u32_e64 v11, s[0:1], v11, v12, vcc
	v_subrev_co_u32_e64 v12, s[0:1], s24, v9
	v_subbrev_co_u32_e64 v11, s[0:1], 0, v11, s[0:1]
	v_cmp_le_u32_e64 s[0:1], s25, v11
	v_cndmask_b32_e64 v13, 0, -1, s[0:1]
	v_cmp_le_u32_e64 s[0:1], s24, v12
	v_cndmask_b32_e64 v12, 0, -1, s[0:1]
	v_cmp_eq_u32_e64 s[0:1], s25, v11
	v_cndmask_b32_e64 v11, v13, v12, s[0:1]
	v_add_co_u32_e64 v12, s[0:1], 2, v4
	v_addc_co_u32_e64 v13, s[0:1], 0, v6, s[0:1]
	v_add_co_u32_e64 v14, s[0:1], 1, v4
	v_addc_co_u32_e64 v15, s[0:1], 0, v6, s[0:1]
	v_subb_co_u32_e32 v10, vcc, v8, v10, vcc
	v_cmp_ne_u32_e64 s[0:1], 0, v11
	v_cmp_le_u32_e32 vcc, s25, v10
	v_cndmask_b32_e64 v11, v15, v13, s[0:1]
	v_cndmask_b32_e64 v13, 0, -1, vcc
	v_cmp_le_u32_e32 vcc, s24, v9
	v_cndmask_b32_e64 v9, 0, -1, vcc
	v_cmp_eq_u32_e32 vcc, s25, v10
	v_cndmask_b32_e32 v9, v13, v9, vcc
	v_cmp_ne_u32_e32 vcc, 0, v9
	v_cndmask_b32_e32 v39, v6, v11, vcc
	v_cndmask_b32_e64 v6, v14, v12, s[0:1]
	v_cndmask_b32_e32 v38, v4, v6, vcc
.LBB0_4:                                ;   in Loop: Header=BB0_2 Depth=1
	s_andn2_saveexec_b64 s[0:1], s[26:27]
	s_cbranch_execz .LBB0_6
; %bb.5:                                ;   in Loop: Header=BB0_2 Depth=1
	v_cvt_f32_u32_e32 v4, s24
	s_sub_i32 s26, 0, s24
	v_mov_b32_e32 v39, v5
	v_rcp_iflag_f32_e32 v4, v4
	v_mul_f32_e32 v4, 0x4f7ffffe, v4
	v_cvt_u32_f32_e32 v4, v4
	v_mul_lo_u32 v6, s26, v4
	v_mul_hi_u32 v6, v4, v6
	v_add_u32_e32 v4, v4, v6
	v_mul_hi_u32 v4, v7, v4
	v_mul_lo_u32 v6, v4, s24
	v_add_u32_e32 v9, 1, v4
	v_sub_u32_e32 v6, v7, v6
	v_subrev_u32_e32 v10, s24, v6
	v_cmp_le_u32_e32 vcc, s24, v6
	v_cndmask_b32_e32 v6, v6, v10, vcc
	v_cndmask_b32_e32 v4, v4, v9, vcc
	v_add_u32_e32 v9, 1, v4
	v_cmp_le_u32_e32 vcc, s24, v6
	v_cndmask_b32_e32 v38, v4, v9, vcc
.LBB0_6:                                ;   in Loop: Header=BB0_2 Depth=1
	s_or_b64 exec, exec, s[0:1]
	v_mul_lo_u32 v4, v39, s24
	v_mul_lo_u32 v6, v38, s25
	v_mad_u64_u32 v[9:10], s[0:1], v38, s24, 0
	s_load_dwordx2 s[0:1], s[6:7], 0x0
	s_load_dwordx2 s[24:25], s[2:3], 0x0
	v_add3_u32 v4, v10, v6, v4
	v_sub_co_u32_e32 v6, vcc, v7, v9
	v_subb_co_u32_e32 v4, vcc, v8, v4, vcc
	s_waitcnt lgkmcnt(0)
	v_mul_lo_u32 v7, s0, v4
	v_mul_lo_u32 v8, s1, v6
	v_mad_u64_u32 v[1:2], s[0:1], s0, v6, v[1:2]
	s_add_u32 s22, s22, 1
	s_addc_u32 s23, s23, 0
	s_add_u32 s2, s2, 8
	v_mul_lo_u32 v4, s24, v4
	v_mul_lo_u32 v9, s25, v6
	v_mad_u64_u32 v[36:37], s[0:1], s24, v6, v[36:37]
	v_add3_u32 v2, v8, v2, v7
	s_addc_u32 s3, s3, 0
	v_mov_b32_e32 v6, s14
	s_add_u32 s6, s6, 8
	v_mov_b32_e32 v7, s15
	s_addc_u32 s7, s7, 0
	v_cmp_ge_u64_e32 vcc, s[22:23], v[6:7]
	s_add_u32 s20, s20, 8
	v_add3_u32 v37, v9, v37, v4
	s_addc_u32 s21, s21, 0
	s_cbranch_vccnz .LBB0_8
; %bb.7:                                ;   in Loop: Header=BB0_2 Depth=1
	v_mov_b32_e32 v7, v38
	v_mov_b32_e32 v8, v39
	s_branch .LBB0_2
.LBB0_8:
	s_mov_b32 s2, 0xaaaaaaab
	s_load_dwordx2 s[0:1], s[4:5], 0x28
	v_mul_hi_u32 v4, v3, s2
	s_lshl_b64 s[6:7], s[14:15], 3
	s_add_u32 s2, s18, s6
	s_addc_u32 s3, s19, s7
	v_lshrrev_b32_e32 v4, 1, v4
	v_lshl_add_u32 v4, v4, 1, v4
	s_waitcnt lgkmcnt(0)
	v_cmp_gt_u64_e32 vcc, s[0:1], v[38:39]
	v_cmp_le_u64_e64 s[0:1], s[0:1], v[38:39]
	v_sub_u32_e32 v3, v3, v4
                                        ; implicit-def: $vgpr40
                                        ; implicit-def: $vgpr46
                                        ; implicit-def: $vgpr45
	s_and_saveexec_b64 s[4:5], s[0:1]
	s_xor_b64 s[0:1], exec, s[4:5]
; %bb.9:
	s_mov_b32 s4, 0xc30c30d
	v_mul_hi_u32 v1, v0, s4
	v_mul_u32_u24_e32 v1, 21, v1
	v_sub_u32_e32 v40, v0, v1
	v_add_u32_e32 v46, 21, v40
	v_add_u32_e32 v45, 42, v40
                                        ; implicit-def: $vgpr0
                                        ; implicit-def: $vgpr1_vgpr2
; %bb.10:
	s_or_saveexec_b64 s[4:5], s[0:1]
	v_mul_u32_u24_e32 v3, 0x93, v3
	v_lshlrev_b32_e32 v4, 4, v3
	s_xor_b64 exec, exec, s[4:5]
	s_cbranch_execz .LBB0_12
; %bb.11:
	s_add_u32 s0, s16, s6
	s_addc_u32 s1, s17, s7
	s_load_dwordx2 s[0:1], s[0:1], 0x0
	s_mov_b32 s6, 0xc30c30d
	v_mul_hi_u32 v3, v0, s6
	s_waitcnt lgkmcnt(0)
	v_mul_lo_u32 v7, s1, v38
	v_mul_lo_u32 v8, s0, v39
	v_mad_u64_u32 v[5:6], s[0:1], s0, v38, 0
	v_mul_u32_u24_e32 v3, 21, v3
	v_sub_u32_e32 v40, v0, v3
	v_add3_u32 v6, v6, v8, v7
	v_lshlrev_b64 v[5:6], 4, v[5:6]
	v_mov_b32_e32 v0, s9
	v_add_co_u32_e64 v3, s[0:1], s8, v5
	v_addc_co_u32_e64 v5, s[0:1], v0, v6, s[0:1]
	v_lshlrev_b64 v[0:1], 4, v[1:2]
	v_lshlrev_b32_e32 v31, 4, v40
	v_add_co_u32_e64 v0, s[0:1], v3, v0
	v_addc_co_u32_e64 v1, s[0:1], v5, v1, s[0:1]
	v_add_co_u32_e64 v29, s[0:1], v0, v31
	v_addc_co_u32_e64 v30, s[0:1], 0, v1, s[0:1]
	global_load_dwordx4 v[0:3], v[29:30], off
	global_load_dwordx4 v[5:8], v[29:30], off offset:336
	global_load_dwordx4 v[9:12], v[29:30], off offset:672
	;; [unrolled: 1-line block ×6, first 2 shown]
	v_add_u32_e32 v46, 21, v40
	v_add_u32_e32 v45, 42, v40
	v_add3_u32 v29, 0, v4, v31
	s_waitcnt vmcnt(6)
	ds_write_b128 v29, v[0:3]
	s_waitcnt vmcnt(5)
	ds_write_b128 v29, v[5:8] offset:336
	s_waitcnt vmcnt(4)
	ds_write_b128 v29, v[9:12] offset:672
	;; [unrolled: 2-line block ×6, first 2 shown]
.LBB0_12:
	s_or_b64 exec, exec, s[4:5]
	v_lshlrev_b32_e32 v0, 4, v40
	v_add_u32_e32 v43, 0, v4
	v_add3_u32 v44, 0, v0, v4
	s_load_dwordx2 s[4:5], s[2:3], 0x0
	s_waitcnt lgkmcnt(0)
	; wave barrier
	s_waitcnt lgkmcnt(0)
	v_add_u32_e32 v5, v43, v0
	ds_read_b128 v[0:3], v44 offset:1680
	ds_read_b128 v[6:9], v44 offset:2016
	;; [unrolled: 1-line block ×3, first 2 shown]
	ds_read_b128 v[14:17], v5
	ds_read_b128 v[18:21], v44 offset:672
	ds_read_b128 v[22:25], v44 offset:1008
	;; [unrolled: 1-line block ×3, first 2 shown]
	s_waitcnt lgkmcnt(4)
	v_add_f64 v[30:31], v[10:11], v[6:7]
	v_add_f64 v[32:33], v[12:13], v[8:9]
	v_add_f64 v[6:7], v[10:11], -v[6:7]
	v_add_f64 v[8:9], v[12:13], -v[8:9]
	s_waitcnt lgkmcnt(2)
	v_add_f64 v[10:11], v[18:19], v[0:1]
	v_add_f64 v[12:13], v[20:21], v[2:3]
	v_add_f64 v[0:1], v[18:19], -v[0:1]
	v_add_f64 v[2:3], v[20:21], -v[2:3]
	;; [unrolled: 5-line block ×3, first 2 shown]
	v_add_f64 v[26:27], v[10:11], v[30:31]
	v_add_f64 v[28:29], v[12:13], v[32:33]
	v_add_f64 v[34:35], v[10:11], -v[30:31]
	v_add_f64 v[41:42], v[12:13], -v[32:33]
	;; [unrolled: 1-line block ×6, first 2 shown]
	v_add_f64 v[47:48], v[22:23], v[0:1]
	v_add_f64 v[49:50], v[24:25], v[2:3]
	v_add_f64 v[51:52], v[22:23], -v[0:1]
	v_add_f64 v[53:54], v[24:25], -v[2:3]
	v_add_f64 v[18:19], v[18:19], v[26:27]
	v_add_f64 v[20:21], v[20:21], v[28:29]
	v_add_f64 v[26:27], v[0:1], -v[6:7]
	v_add_f64 v[28:29], v[2:3], -v[8:9]
	s_mov_b32 s6, 0x37e14327
	s_mov_b32 s2, 0x36b3c0b5
	;; [unrolled: 1-line block ×7, first 2 shown]
	v_add_f64 v[22:23], v[6:7], -v[22:23]
	v_add_f64 v[24:25], v[8:9], -v[24:25]
	v_add_f64 v[6:7], v[47:48], v[6:7]
	v_add_f64 v[8:9], v[49:50], v[8:9]
	;; [unrolled: 1-line block ×4, first 2 shown]
	v_mul_f64 v[14:15], v[30:31], s[6:7]
	v_mul_f64 v[16:17], v[32:33], s[6:7]
	;; [unrolled: 1-line block ×6, first 2 shown]
	s_mov_b32 s1, 0x3febfeb5
	v_mul_f64 v[51:52], v[26:27], s[0:1]
	v_mul_f64 v[53:54], v[28:29], s[0:1]
	s_mov_b32 s14, 0xaaaaaaaa
	s_mov_b32 s16, 0x5476071b
	;; [unrolled: 1-line block ×8, first 2 shown]
	v_fma_f64 v[18:19], v[18:19], s[14:15], v[0:1]
	v_fma_f64 v[20:21], v[20:21], s[14:15], v[2:3]
	;; [unrolled: 1-line block ×4, first 2 shown]
	v_fma_f64 v[30:31], v[34:35], s[16:17], -v[30:31]
	v_fma_f64 v[32:33], v[41:42], s[16:17], -v[32:33]
	v_fma_f64 v[14:15], v[34:35], s[18:19], -v[14:15]
	v_fma_f64 v[16:17], v[41:42], s[18:19], -v[16:17]
	v_fma_f64 v[34:35], v[22:23], s[22:23], v[47:48]
	v_fma_f64 v[41:42], v[24:25], s[22:23], v[49:50]
	s_mov_b32 s25, 0xbfd5d0dc
	s_mov_b32 s24, s22
	v_fma_f64 v[22:23], v[22:23], s[24:25], -v[51:52]
	v_fma_f64 v[24:25], v[24:25], s[24:25], -v[53:54]
	;; [unrolled: 1-line block ×4, first 2 shown]
	s_mov_b32 s20, 0x37c3f68c
	s_mov_b32 s21, 0x3fdc38aa
	v_add_f64 v[47:48], v[10:11], v[18:19]
	v_add_f64 v[49:50], v[12:13], v[20:21]
	v_fma_f64 v[41:42], v[8:9], s[20:21], v[41:42]
	v_fma_f64 v[34:35], v[6:7], s[20:21], v[34:35]
	v_add_f64 v[51:52], v[14:15], v[18:19]
	v_add_f64 v[53:54], v[16:17], v[20:21]
	v_fma_f64 v[24:25], v[8:9], s[20:21], v[24:25]
	v_fma_f64 v[55:56], v[6:7], s[20:21], v[22:23]
	;; [unrolled: 4-line block ×3, first 2 shown]
	v_add_f64 v[6:7], v[47:48], v[41:42]
	v_add_f64 v[8:9], v[49:50], -v[34:35]
	v_add_f64 v[10:11], v[51:52], v[24:25]
	v_add_f64 v[12:13], v[53:54], -v[55:56]
	v_add_f64 v[22:23], v[51:52], -v[24:25]
	v_add_f64 v[24:25], v[55:56], v[53:54]
	v_add_f64 v[14:15], v[30:31], -v[18:19]
	v_add_f64 v[16:17], v[20:21], v[32:33]
	v_add_f64 v[18:19], v[30:31], v[18:19]
	v_add_f64 v[20:21], v[32:33], -v[20:21]
	v_add_f64 v[26:27], v[47:48], -v[41:42]
	v_add_f64 v[28:29], v[34:35], v[49:50]
	s_movk_i32 s26, 0x60
	v_mad_u32_u24 v30, v40, s26, v44
	s_waitcnt lgkmcnt(0)
	; wave barrier
	ds_write_b128 v30, v[0:3]
	ds_write_b128 v30, v[6:9] offset:16
	ds_write_b128 v30, v[10:13] offset:32
	;; [unrolled: 1-line block ×6, first 2 shown]
	v_mov_b32_e32 v0, 37
	v_mul_lo_u16_sdwa v0, v40, v0 dst_sel:DWORD dst_unused:UNUSED_PAD src0_sel:BYTE_0 src1_sel:DWORD
	v_sub_u16_sdwa v1, v40, v0 dst_sel:DWORD dst_unused:UNUSED_PAD src0_sel:DWORD src1_sel:BYTE_1
	v_lshrrev_b16_e32 v1, 1, v1
	v_and_b32_e32 v1, 0x7f, v1
	v_add_u16_sdwa v0, v1, v0 dst_sel:DWORD dst_unused:UNUSED_PAD src0_sel:DWORD src1_sel:BYTE_1
	v_lshrrev_b16_e32 v7, 2, v0
	v_mul_lo_u16_e32 v0, 7, v7
	v_sub_u16_e32 v6, v40, v0
	v_mov_b32_e32 v0, 6
	v_mul_u32_u24_sdwa v0, v6, v0 dst_sel:DWORD dst_unused:UNUSED_PAD src0_sel:BYTE_0 src1_sel:DWORD
	v_lshlrev_b32_e32 v8, 4, v0
	s_waitcnt lgkmcnt(0)
	; wave barrier
	s_waitcnt lgkmcnt(0)
	global_load_dwordx4 v[0:3], v8, s[12:13]
	global_load_dwordx4 v[9:12], v8, s[12:13] offset:16
	global_load_dwordx4 v[13:16], v8, s[12:13] offset:80
	;; [unrolled: 1-line block ×5, first 2 shown]
	v_lshl_add_u32 v47, v46, 4, v43
	ds_read_b128 v[29:32], v47
	v_lshl_add_u32 v8, v45, 4, v43
	ds_read_b128 v[48:51], v8
	ds_read_b128 v[52:55], v44 offset:2016
	s_waitcnt vmcnt(5) lgkmcnt(2)
	v_mul_f64 v[33:34], v[31:32], v[2:3]
	v_mul_f64 v[2:3], v[29:30], v[2:3]
	s_waitcnt vmcnt(4) lgkmcnt(1)
	v_mul_f64 v[41:42], v[50:51], v[11:12]
	v_mul_f64 v[11:12], v[48:49], v[11:12]
	s_waitcnt vmcnt(3) lgkmcnt(0)
	v_mul_f64 v[58:59], v[54:55], v[15:16]
	v_mul_f64 v[15:16], v[52:53], v[15:16]
	v_fma_f64 v[33:34], v[29:30], v[0:1], -v[33:34]
	v_fma_f64 v[56:57], v[31:32], v[0:1], v[2:3]
	ds_read_b128 v[0:3], v44 offset:1008
	ds_read_b128 v[29:32], v44 offset:1680
	v_fma_f64 v[41:42], v[48:49], v[9:10], -v[41:42]
	v_fma_f64 v[48:49], v[50:51], v[9:10], v[11:12]
	v_fma_f64 v[52:53], v[52:53], v[13:14], -v[58:59]
	s_waitcnt vmcnt(2) lgkmcnt(1)
	v_mul_f64 v[50:51], v[2:3], v[19:20]
	v_mul_f64 v[19:20], v[0:1], v[19:20]
	v_fma_f64 v[13:14], v[54:55], v[13:14], v[15:16]
	s_waitcnt vmcnt(1) lgkmcnt(0)
	v_mul_f64 v[15:16], v[31:32], v[23:24]
	v_mul_f64 v[23:24], v[29:30], v[23:24]
	ds_read_b128 v[9:12], v44 offset:1344
	v_fma_f64 v[50:51], v[0:1], v[17:18], -v[50:51]
	v_fma_f64 v[17:18], v[2:3], v[17:18], v[19:20]
	ds_read_b128 v[0:3], v5
	s_waitcnt vmcnt(0) lgkmcnt(1)
	v_mul_f64 v[54:55], v[11:12], v[27:28]
	v_mul_f64 v[27:28], v[9:10], v[27:28]
	v_fma_f64 v[15:16], v[29:30], v[21:22], -v[15:16]
	v_fma_f64 v[19:20], v[31:32], v[21:22], v[23:24]
	v_add_f64 v[21:22], v[33:34], v[52:53]
	v_add_f64 v[23:24], v[56:57], v[13:14]
	v_add_f64 v[13:14], v[56:57], -v[13:14]
	s_waitcnt lgkmcnt(0)
	v_fma_f64 v[9:10], v[9:10], v[25:26], -v[54:55]
	v_fma_f64 v[11:12], v[11:12], v[25:26], v[27:28]
	v_add_f64 v[27:28], v[41:42], v[15:16]
	v_add_f64 v[29:30], v[48:49], v[19:20]
	v_add_f64 v[25:26], v[33:34], -v[52:53]
	v_add_f64 v[15:16], v[41:42], -v[15:16]
	;; [unrolled: 1-line block ×3, first 2 shown]
	; wave barrier
	v_add_f64 v[31:32], v[50:51], v[9:10]
	v_add_f64 v[33:34], v[17:18], v[11:12]
	v_add_f64 v[9:10], v[9:10], -v[50:51]
	v_add_f64 v[11:12], v[11:12], -v[17:18]
	v_add_f64 v[17:18], v[27:28], v[21:22]
	v_add_f64 v[41:42], v[29:30], v[23:24]
	v_add_f64 v[48:49], v[27:28], -v[21:22]
	v_add_f64 v[50:51], v[29:30], -v[23:24]
	;; [unrolled: 1-line block ×6, first 2 shown]
	v_add_f64 v[52:53], v[9:10], v[15:16]
	v_add_f64 v[54:55], v[11:12], v[19:20]
	v_add_f64 v[56:57], v[9:10], -v[15:16]
	v_add_f64 v[58:59], v[11:12], -v[19:20]
	v_add_f64 v[17:18], v[31:32], v[17:18]
	v_add_f64 v[31:32], v[33:34], v[41:42]
	v_add_f64 v[15:16], v[15:16], -v[25:26]
	v_add_f64 v[19:20], v[19:20], -v[13:14]
	;; [unrolled: 1-line block ×4, first 2 shown]
	v_add_f64 v[25:26], v[52:53], v[25:26]
	v_add_f64 v[13:14], v[54:55], v[13:14]
	;; [unrolled: 1-line block ×4, first 2 shown]
	v_mul_f64 v[0:1], v[21:22], s[6:7]
	v_mul_f64 v[2:3], v[23:24], s[6:7]
	;; [unrolled: 1-line block ×8, first 2 shown]
	v_fma_f64 v[17:18], v[17:18], s[14:15], v[9:10]
	v_fma_f64 v[31:32], v[31:32], s[14:15], v[11:12]
	;; [unrolled: 1-line block ×4, first 2 shown]
	v_fma_f64 v[21:22], v[48:49], s[16:17], -v[21:22]
	v_fma_f64 v[23:24], v[50:51], s[16:17], -v[23:24]
	;; [unrolled: 1-line block ×4, first 2 shown]
	v_fma_f64 v[48:49], v[33:34], s[22:23], v[52:53]
	v_fma_f64 v[50:51], v[41:42], s[22:23], v[54:55]
	v_fma_f64 v[33:34], v[33:34], s[24:25], -v[56:57]
	v_fma_f64 v[41:42], v[41:42], s[24:25], -v[58:59]
	;; [unrolled: 1-line block ×4, first 2 shown]
	v_add_f64 v[52:53], v[27:28], v[17:18]
	v_add_f64 v[54:55], v[29:30], v[31:32]
	v_fma_f64 v[48:49], v[25:26], s[20:21], v[48:49]
	v_fma_f64 v[50:51], v[13:14], s[20:21], v[50:51]
	v_add_f64 v[29:30], v[23:24], v[31:32]
	v_add_f64 v[0:1], v[0:1], v[17:18]
	;; [unrolled: 1-line block ×3, first 2 shown]
	v_fma_f64 v[31:32], v[13:14], s[20:21], v[41:42]
	v_fma_f64 v[33:34], v[25:26], s[20:21], v[33:34]
	v_add_f64 v[27:28], v[21:22], v[17:18]
	v_fma_f64 v[41:42], v[13:14], s[20:21], v[19:20]
	v_fma_f64 v[56:57], v[25:26], s[20:21], v[15:16]
	v_add_f64 v[13:14], v[50:51], v[52:53]
	v_add_f64 v[15:16], v[54:55], -v[48:49]
	s_movk_i32 s0, 0x310
	v_add_f64 v[17:18], v[31:32], v[0:1]
	v_add_f64 v[19:20], v[2:3], -v[33:34]
	v_mad_u32_u24 v7, v7, s0, 0
	v_add_f64 v[21:22], v[27:28], -v[41:42]
	v_add_f64 v[23:24], v[56:57], v[29:30]
	v_add_f64 v[25:26], v[41:42], v[27:28]
	v_add_f64 v[27:28], v[29:30], -v[56:57]
	v_add_f64 v[29:30], v[0:1], -v[31:32]
	v_add_f64 v[31:32], v[33:34], v[2:3]
	v_mov_b32_e32 v33, 4
	v_add_f64 v[0:1], v[52:53], -v[50:51]
	v_add_f64 v[2:3], v[48:49], v[54:55]
	v_lshlrev_b32_sdwa v6, v33, v6 dst_sel:DWORD dst_unused:UNUSED_PAD src0_sel:DWORD src1_sel:BYTE_0
	v_add3_u32 v4, v7, v6, v4
	ds_write_b128 v4, v[9:12]
	ds_write_b128 v4, v[13:16] offset:112
	ds_write_b128 v4, v[17:20] offset:224
	;; [unrolled: 1-line block ×6, first 2 shown]
	s_waitcnt lgkmcnt(0)
	; wave barrier
	s_waitcnt lgkmcnt(0)
	ds_read_b128 v[16:19], v5
	ds_read_b128 v[12:15], v47
	ds_read_b128 v[32:35], v44 offset:784
	ds_read_b128 v[24:27], v44 offset:1120
	ds_read_b128 v[28:31], v44 offset:1568
	ds_read_b128 v[20:23], v44 offset:1904
	v_cmp_gt_u32_e64 s[0:1], 7, v40
                                        ; implicit-def: $vgpr10_vgpr11
                                        ; implicit-def: $vgpr6_vgpr7
	s_and_saveexec_b64 s[2:3], s[0:1]
	s_cbranch_execz .LBB0_14
; %bb.13:
	ds_read_b128 v[0:3], v8
	ds_read_b128 v[4:7], v44 offset:1456
	ds_read_b128 v[8:11], v44 offset:2240
.LBB0_14:
	s_or_b64 exec, exec, s[2:3]
	v_lshlrev_b32_e32 v41, 1, v40
	v_mov_b32_e32 v42, 0
	v_lshlrev_b64 v[48:49], 4, v[41:42]
	v_mov_b32_e32 v58, s13
	v_add_co_u32_e64 v56, s[2:3], s12, v48
	v_addc_co_u32_e64 v57, s[2:3], v58, v49, s[2:3]
	global_load_dwordx4 v[48:51], v[56:57], off offset:688
	global_load_dwordx4 v[52:55], v[56:57], off offset:672
	v_lshlrev_b32_e32 v41, 1, v46
	s_mov_b32 s7, 0xbfebb67a
	s_waitcnt vmcnt(0) lgkmcnt(3)
	v_mul_f64 v[56:57], v[34:35], v[54:55]
	v_fma_f64 v[56:57], v[32:33], v[52:53], -v[56:57]
	v_mul_f64 v[32:33], v[32:33], v[54:55]
	v_fma_f64 v[52:53], v[34:35], v[52:53], v[32:33]
	s_waitcnt lgkmcnt(1)
	v_mul_f64 v[32:33], v[30:31], v[50:51]
	v_fma_f64 v[54:55], v[28:29], v[48:49], -v[32:33]
	v_mul_f64 v[28:29], v[28:29], v[50:51]
	v_fma_f64 v[48:49], v[30:31], v[48:49], v[28:29]
	v_lshlrev_b64 v[28:29], 4, v[41:42]
	v_add_co_u32_e64 v50, s[2:3], s12, v28
	v_addc_co_u32_e64 v51, s[2:3], v58, v29, s[2:3]
	global_load_dwordx4 v[28:31], v[50:51], off offset:688
	global_load_dwordx4 v[32:35], v[50:51], off offset:672
	s_mov_b32 s2, 0xe8584caa
	s_mov_b32 s3, 0x3febb67a
	;; [unrolled: 1-line block ×3, first 2 shown]
	s_waitcnt lgkmcnt(0)
	; wave barrier
	s_waitcnt vmcnt(0) lgkmcnt(0)
	v_mul_f64 v[50:51], v[26:27], v[34:35]
	v_fma_f64 v[50:51], v[24:25], v[32:33], -v[50:51]
	v_mul_f64 v[24:25], v[24:25], v[34:35]
	v_fma_f64 v[34:35], v[26:27], v[32:33], v[24:25]
	v_mul_f64 v[24:25], v[22:23], v[30:31]
	v_add_f64 v[26:27], v[52:53], v[48:49]
	v_fma_f64 v[58:59], v[20:21], v[28:29], -v[24:25]
	v_mul_f64 v[20:21], v[20:21], v[30:31]
	v_add_f64 v[24:25], v[52:53], -v[48:49]
	v_fma_f64 v[26:27], v[26:27], -0.5, v[18:19]
	v_add_f64 v[30:31], v[50:51], v[58:59]
	v_fma_f64 v[60:61], v[22:23], v[28:29], v[20:21]
	v_add_f64 v[22:23], v[56:57], v[54:55]
	v_add_f64 v[28:29], v[56:57], -v[54:55]
	v_add_f64 v[20:21], v[16:17], v[56:57]
	v_fma_f64 v[30:31], v[30:31], -0.5, v[12:13]
	v_add_f64 v[32:33], v[34:35], -v[60:61]
	v_fma_f64 v[22:23], v[22:23], -0.5, v[16:17]
	v_add_f64 v[20:21], v[20:21], v[54:55]
	v_fma_f64 v[16:17], v[24:25], s[2:3], v[22:23]
	v_fma_f64 v[24:25], v[24:25], s[6:7], v[22:23]
	v_add_f64 v[22:23], v[18:19], v[52:53]
	v_fma_f64 v[18:19], v[28:29], s[6:7], v[26:27]
	v_fma_f64 v[26:27], v[28:29], s[2:3], v[26:27]
	;; [unrolled: 3-line block ×3, first 2 shown]
	v_add_f64 v[30:31], v[14:15], v[34:35]
	v_add_f64 v[34:35], v[34:35], v[60:61]
	;; [unrolled: 1-line block ×3, first 2 shown]
	v_add_f64 v[48:49], v[50:51], -v[58:59]
	v_add_f64 v[28:29], v[28:29], v[58:59]
	v_add_f64 v[30:31], v[30:31], v[60:61]
	v_fma_f64 v[34:35], v[34:35], -0.5, v[14:15]
	v_fma_f64 v[14:15], v[48:49], s[6:7], v[34:35]
	v_fma_f64 v[34:35], v[48:49], s[2:3], v[34:35]
	ds_write_b128 v44, v[20:23]
	ds_write_b128 v44, v[16:19] offset:784
	ds_write_b128 v44, v[24:27] offset:1568
	ds_write_b128 v47, v[28:31]
	ds_write_b128 v47, v[12:15] offset:784
	ds_write_b128 v47, v[32:35] offset:1568
	s_and_saveexec_b64 s[8:9], s[0:1]
	s_cbranch_execz .LBB0_16
; %bb.15:
	v_add_u32_e32 v12, -7, v40
	v_cndmask_b32_e64 v12, v12, v45, s[0:1]
	v_lshlrev_b32_e32 v41, 1, v12
	v_lshlrev_b64 v[12:13], 4, v[41:42]
	v_mov_b32_e32 v14, s13
	v_add_co_u32_e64 v20, s[0:1], s12, v12
	v_addc_co_u32_e64 v21, s[0:1], v14, v13, s[0:1]
	global_load_dwordx4 v[12:15], v[20:21], off offset:672
	global_load_dwordx4 v[16:19], v[20:21], off offset:688
	s_waitcnt vmcnt(1)
	v_mul_f64 v[20:21], v[4:5], v[14:15]
	s_waitcnt vmcnt(0)
	v_mul_f64 v[22:23], v[8:9], v[18:19]
	v_mul_f64 v[14:15], v[6:7], v[14:15]
	;; [unrolled: 1-line block ×3, first 2 shown]
	v_fma_f64 v[6:7], v[6:7], v[12:13], v[20:21]
	v_fma_f64 v[10:11], v[10:11], v[16:17], v[22:23]
	v_fma_f64 v[4:5], v[4:5], v[12:13], -v[14:15]
	v_fma_f64 v[8:9], v[8:9], v[16:17], -v[18:19]
	v_add_f64 v[18:19], v[2:3], v[6:7]
	v_add_f64 v[12:13], v[6:7], v[10:11]
	v_add_f64 v[20:21], v[6:7], -v[10:11]
	v_add_f64 v[14:15], v[4:5], v[8:9]
	v_add_f64 v[16:17], v[4:5], -v[8:9]
	v_add_f64 v[4:5], v[0:1], v[4:5]
	v_fma_f64 v[12:13], v[12:13], -0.5, v[2:3]
	v_add_f64 v[2:3], v[18:19], v[10:11]
	v_fma_f64 v[14:15], v[14:15], -0.5, v[0:1]
	v_add_f64 v[0:1], v[4:5], v[8:9]
	v_fma_f64 v[10:11], v[16:17], s[6:7], v[12:13]
	v_fma_f64 v[6:7], v[16:17], s[2:3], v[12:13]
	;; [unrolled: 1-line block ×4, first 2 shown]
	ds_write_b128 v44, v[0:3] offset:672
	ds_write_b128 v44, v[8:11] offset:1456
	;; [unrolled: 1-line block ×3, first 2 shown]
.LBB0_16:
	s_or_b64 exec, exec, s[8:9]
	s_waitcnt lgkmcnt(0)
	; wave barrier
	s_waitcnt lgkmcnt(0)
	s_and_saveexec_b64 s[0:1], vcc
	s_cbranch_execz .LBB0_18
; %bb.17:
	v_mul_lo_u32 v0, s5, v38
	v_mul_lo_u32 v1, s4, v39
	v_mad_u64_u32 v[4:5], s[0:1], s4, v38, 0
	v_mov_b32_e32 v6, s11
	v_lshl_add_u32 v10, v40, 4, v43
	v_add3_u32 v5, v5, v1, v0
	v_lshlrev_b64 v[4:5], 4, v[4:5]
	v_mov_b32_e32 v41, 0
	v_add_co_u32_e32 v7, vcc, s10, v4
	v_addc_co_u32_e32 v6, vcc, v6, v5, vcc
	v_lshlrev_b64 v[4:5], 4, v[36:37]
	ds_read_b128 v[0:3], v10
	v_add_co_u32_e32 v11, vcc, v7, v4
	v_addc_co_u32_e32 v12, vcc, v6, v5, vcc
	v_lshlrev_b64 v[4:5], 4, v[40:41]
	v_add_co_u32_e32 v8, vcc, v11, v4
	v_addc_co_u32_e32 v9, vcc, v12, v5, vcc
	ds_read_b128 v[4:7], v10 offset:336
	s_waitcnt lgkmcnt(1)
	global_store_dwordx4 v[8:9], v[0:3], off
	s_nop 0
	v_add_u32_e32 v0, 21, v40
	v_mov_b32_e32 v1, v41
	v_lshlrev_b64 v[0:1], 4, v[0:1]
	v_add_co_u32_e32 v0, vcc, v11, v0
	v_addc_co_u32_e32 v1, vcc, v12, v1, vcc
	s_waitcnt lgkmcnt(0)
	global_store_dwordx4 v[0:1], v[4:7], off
	ds_read_b128 v[0:3], v10 offset:672
	v_add_u32_e32 v4, 42, v40
	v_mov_b32_e32 v5, v41
	v_lshlrev_b64 v[4:5], 4, v[4:5]
	v_add_co_u32_e32 v8, vcc, v11, v4
	v_addc_co_u32_e32 v9, vcc, v12, v5, vcc
	ds_read_b128 v[4:7], v10 offset:1008
	s_waitcnt lgkmcnt(1)
	global_store_dwordx4 v[8:9], v[0:3], off
	s_nop 0
	v_add_u32_e32 v0, 63, v40
	v_mov_b32_e32 v1, v41
	v_lshlrev_b64 v[0:1], 4, v[0:1]
	v_add_co_u32_e32 v0, vcc, v11, v0
	v_addc_co_u32_e32 v1, vcc, v12, v1, vcc
	s_waitcnt lgkmcnt(0)
	global_store_dwordx4 v[0:1], v[4:7], off
	ds_read_b128 v[0:3], v10 offset:1344
	v_add_u32_e32 v4, 0x54, v40
	v_mov_b32_e32 v5, v41
	v_lshlrev_b64 v[4:5], 4, v[4:5]
	v_add_co_u32_e32 v8, vcc, v11, v4
	v_addc_co_u32_e32 v9, vcc, v12, v5, vcc
	ds_read_b128 v[4:7], v10 offset:1680
	s_waitcnt lgkmcnt(1)
	global_store_dwordx4 v[8:9], v[0:3], off
	s_nop 0
	v_add_u32_e32 v0, 0x69, v40
	v_mov_b32_e32 v1, v41
	v_lshlrev_b64 v[0:1], 4, v[0:1]
	v_add_u32_e32 v40, 0x7e, v40
	v_add_co_u32_e32 v0, vcc, v11, v0
	v_addc_co_u32_e32 v1, vcc, v12, v1, vcc
	s_waitcnt lgkmcnt(0)
	global_store_dwordx4 v[0:1], v[4:7], off
	ds_read_b128 v[0:3], v10 offset:2016
	v_lshlrev_b64 v[4:5], 4, v[40:41]
	v_add_co_u32_e32 v4, vcc, v11, v4
	v_addc_co_u32_e32 v5, vcc, v12, v5, vcc
	s_waitcnt lgkmcnt(0)
	global_store_dwordx4 v[4:5], v[0:3], off
.LBB0_18:
	s_endpgm
	.section	.rodata,"a",@progbits
	.p2align	6, 0x0
	.amdhsa_kernel fft_rtc_fwd_len147_factors_7_7_3_wgs_63_tpt_21_dp_op_CI_CI_unitstride_sbrr_dirReg
		.amdhsa_group_segment_fixed_size 0
		.amdhsa_private_segment_fixed_size 0
		.amdhsa_kernarg_size 104
		.amdhsa_user_sgpr_count 6
		.amdhsa_user_sgpr_private_segment_buffer 1
		.amdhsa_user_sgpr_dispatch_ptr 0
		.amdhsa_user_sgpr_queue_ptr 0
		.amdhsa_user_sgpr_kernarg_segment_ptr 1
		.amdhsa_user_sgpr_dispatch_id 0
		.amdhsa_user_sgpr_flat_scratch_init 0
		.amdhsa_user_sgpr_private_segment_size 0
		.amdhsa_uses_dynamic_stack 0
		.amdhsa_system_sgpr_private_segment_wavefront_offset 0
		.amdhsa_system_sgpr_workgroup_id_x 1
		.amdhsa_system_sgpr_workgroup_id_y 0
		.amdhsa_system_sgpr_workgroup_id_z 0
		.amdhsa_system_sgpr_workgroup_info 0
		.amdhsa_system_vgpr_workitem_id 0
		.amdhsa_next_free_vgpr 62
		.amdhsa_next_free_sgpr 28
		.amdhsa_reserve_vcc 1
		.amdhsa_reserve_flat_scratch 0
		.amdhsa_float_round_mode_32 0
		.amdhsa_float_round_mode_16_64 0
		.amdhsa_float_denorm_mode_32 3
		.amdhsa_float_denorm_mode_16_64 3
		.amdhsa_dx10_clamp 1
		.amdhsa_ieee_mode 1
		.amdhsa_fp16_overflow 0
		.amdhsa_exception_fp_ieee_invalid_op 0
		.amdhsa_exception_fp_denorm_src 0
		.amdhsa_exception_fp_ieee_div_zero 0
		.amdhsa_exception_fp_ieee_overflow 0
		.amdhsa_exception_fp_ieee_underflow 0
		.amdhsa_exception_fp_ieee_inexact 0
		.amdhsa_exception_int_div_zero 0
	.end_amdhsa_kernel
	.text
.Lfunc_end0:
	.size	fft_rtc_fwd_len147_factors_7_7_3_wgs_63_tpt_21_dp_op_CI_CI_unitstride_sbrr_dirReg, .Lfunc_end0-fft_rtc_fwd_len147_factors_7_7_3_wgs_63_tpt_21_dp_op_CI_CI_unitstride_sbrr_dirReg
                                        ; -- End function
	.section	.AMDGPU.csdata,"",@progbits
; Kernel info:
; codeLenInByte = 4988
; NumSgprs: 32
; NumVgprs: 62
; ScratchSize: 0
; MemoryBound: 0
; FloatMode: 240
; IeeeMode: 1
; LDSByteSize: 0 bytes/workgroup (compile time only)
; SGPRBlocks: 3
; VGPRBlocks: 15
; NumSGPRsForWavesPerEU: 32
; NumVGPRsForWavesPerEU: 62
; Occupancy: 4
; WaveLimiterHint : 1
; COMPUTE_PGM_RSRC2:SCRATCH_EN: 0
; COMPUTE_PGM_RSRC2:USER_SGPR: 6
; COMPUTE_PGM_RSRC2:TRAP_HANDLER: 0
; COMPUTE_PGM_RSRC2:TGID_X_EN: 1
; COMPUTE_PGM_RSRC2:TGID_Y_EN: 0
; COMPUTE_PGM_RSRC2:TGID_Z_EN: 0
; COMPUTE_PGM_RSRC2:TIDIG_COMP_CNT: 0
	.type	__hip_cuid_c2dc687a45135e0c,@object ; @__hip_cuid_c2dc687a45135e0c
	.section	.bss,"aw",@nobits
	.globl	__hip_cuid_c2dc687a45135e0c
__hip_cuid_c2dc687a45135e0c:
	.byte	0                               ; 0x0
	.size	__hip_cuid_c2dc687a45135e0c, 1

	.ident	"AMD clang version 19.0.0git (https://github.com/RadeonOpenCompute/llvm-project roc-6.4.0 25133 c7fe45cf4b819c5991fe208aaa96edf142730f1d)"
	.section	".note.GNU-stack","",@progbits
	.addrsig
	.addrsig_sym __hip_cuid_c2dc687a45135e0c
	.amdgpu_metadata
---
amdhsa.kernels:
  - .args:
      - .actual_access:  read_only
        .address_space:  global
        .offset:         0
        .size:           8
        .value_kind:     global_buffer
      - .offset:         8
        .size:           8
        .value_kind:     by_value
      - .actual_access:  read_only
        .address_space:  global
        .offset:         16
        .size:           8
        .value_kind:     global_buffer
      - .actual_access:  read_only
        .address_space:  global
        .offset:         24
        .size:           8
        .value_kind:     global_buffer
      - .actual_access:  read_only
        .address_space:  global
        .offset:         32
        .size:           8
        .value_kind:     global_buffer
      - .offset:         40
        .size:           8
        .value_kind:     by_value
      - .actual_access:  read_only
        .address_space:  global
        .offset:         48
        .size:           8
        .value_kind:     global_buffer
      - .actual_access:  read_only
        .address_space:  global
        .offset:         56
        .size:           8
        .value_kind:     global_buffer
      - .offset:         64
        .size:           4
        .value_kind:     by_value
      - .actual_access:  read_only
        .address_space:  global
        .offset:         72
        .size:           8
        .value_kind:     global_buffer
      - .actual_access:  read_only
        .address_space:  global
        .offset:         80
        .size:           8
        .value_kind:     global_buffer
      - .actual_access:  read_only
        .address_space:  global
        .offset:         88
        .size:           8
        .value_kind:     global_buffer
      - .actual_access:  write_only
        .address_space:  global
        .offset:         96
        .size:           8
        .value_kind:     global_buffer
    .group_segment_fixed_size: 0
    .kernarg_segment_align: 8
    .kernarg_segment_size: 104
    .language:       OpenCL C
    .language_version:
      - 2
      - 0
    .max_flat_workgroup_size: 63
    .name:           fft_rtc_fwd_len147_factors_7_7_3_wgs_63_tpt_21_dp_op_CI_CI_unitstride_sbrr_dirReg
    .private_segment_fixed_size: 0
    .sgpr_count:     32
    .sgpr_spill_count: 0
    .symbol:         fft_rtc_fwd_len147_factors_7_7_3_wgs_63_tpt_21_dp_op_CI_CI_unitstride_sbrr_dirReg.kd
    .uniform_work_group_size: 1
    .uses_dynamic_stack: false
    .vgpr_count:     62
    .vgpr_spill_count: 0
    .wavefront_size: 64
amdhsa.target:   amdgcn-amd-amdhsa--gfx906
amdhsa.version:
  - 1
  - 2
...

	.end_amdgpu_metadata
